;; amdgpu-corpus repo=zjin-lcf/HeCBench kind=compiled arch=gfx1250 opt=O3
	.amdgcn_target "amdgcn-amd-amdhsa--gfx1250"
	.amdhsa_code_object_version 6
	.text
	.protected	_Z15benchmark_shmemP15HIP_vector_typeIfLj4EE ; -- Begin function _Z15benchmark_shmemP15HIP_vector_typeIfLj4EE
	.globl	_Z15benchmark_shmemP15HIP_vector_typeIfLj4EE
	.p2align	8
	.type	_Z15benchmark_shmemP15HIP_vector_typeIfLj4EE,@function
_Z15benchmark_shmemP15HIP_vector_typeIfLj4EE: ; @_Z15benchmark_shmemP15HIP_vector_typeIfLj4EE
; %bb.0:
	s_load_b32 s2, s[0:1], 0x14
	v_dual_add_nc_u32 v3, 11, v0 :: v_dual_lshlrev_b32 v1, 4, v0
	v_dual_add_nc_u32 v4, 19, v0 :: v_dual_add_nc_u32 v5, 23, v0
	v_cvt_f32_u32_e32 v2, v0
	v_dual_add_nc_u32 v6, 20, v0 :: v_dual_add_nc_u32 v9, 1, v0
	s_delay_alu instid0(VALU_DEP_4) | instskip(NEXT) | instid1(VALU_DEP_4)
	v_cvt_f32_u32_e32 v3, v3
	v_cvt_f32_u32_e32 v5, v5
	;; [unrolled: 1-line block ×3, first 2 shown]
	v_dual_add_nc_u32 v11, 3, v0 :: v_dual_add_nc_u32 v12, 14, v0
	v_dual_add_nc_u32 v7, 12, v0 :: v_dual_add_nc_u32 v10, 22, v0
	v_cvt_f32_u32_e32 v8, v6
	v_cvt_f32_u32_e32 v6, v9
	ds_store_b128 v1, v[2:5]
	v_dual_add_nc_u32 v5, 18, v0 :: v_dual_add_nc_u32 v9, 7, v0
	s_wait_kmcnt 0x0
	s_and_b32 s2, s2, 0xffff
	v_cvt_f32_u32_e32 v21, v12
	s_lshl_b32 s3, s2, 4
	s_lshl_b32 s4, s2, 5
	s_delay_alu instid0(SALU_CYCLE_1) | instskip(SKIP_1) | instid1(SALU_CYCLE_1)
	v_dual_add_nc_u32 v3, s3, v1 :: v_dual_add_nc_u32 v2, s4, v1
	s_add_co_i32 s4, s4, s3
	v_dual_add_nc_u32 v12, 32, v0 :: v_dual_add_nc_u32 v4, s4, v1
	v_cvt_f32_u32_e32 v18, v10
	v_cvt_f32_u32_e32 v10, v9
	v_add_nc_u32_e32 v9, 24, v0
	v_cvt_f32_u32_e32 v7, v7
	v_cvt_f32_u32_e32 v22, v12
	v_add_nc_u32_e32 v12, 26, v0
	s_add_co_i32 s4, s4, s3
	v_cvt_f32_u32_e32 v25, v9
	v_add_nc_u32_e32 v13, 13, v0
	ds_store_b96 v3, v[6:8]
	ds_store_b32 v3, v25 offset:12
	v_cvt_f32_u32_e32 v19, v12
	v_dual_add_nc_u32 v9, 30, v0 :: v_dual_add_nc_u32 v8, 36, v0
	v_dual_add_nc_u32 v7, s3, v3 :: v_dual_add_nc_u32 v14, 17, v0
	v_cvt_f32_u32_e32 v20, v11
	v_cvt_f32_u32_e32 v11, v5
	v_add_nc_u32_e32 v5, s4, v1
	v_cvt_f32_u32_e32 v24, v13
	v_mov_b32_e32 v12, v19
	v_cvt_f32_u32_e32 v13, v9
	v_dual_add_nc_u32 v9, 28, v0 :: v_dual_add_nc_u32 v16, 40, v0
	v_cvt_f32_u32_e32 v23, v8
	v_add_nc_u32_e32 v8, s3, v7
	v_add3_u32 v6, s4, s3, v1
	s_delay_alu instid0(VALU_DEP_4) | instskip(SKIP_1) | instid1(VALU_DEP_4)
	v_cvt_f32_u32_e32 v15, v9
	v_cvt_f32_u32_e32 v17, v16
	v_dual_mov_b32 v16, v23 :: v_dual_add_nc_u32 v9, s3, v8
	v_cvt_f32_u32_e32 v14, v14
	ds_store_2addr_b64 v2, v[20:21], v[18:19] offset1:1
	ds_store_b128 v4, v[10:13]
	ds_store_2addr_b64 v5, v[24:25], v[22:23] offset1:1
	ds_store_b128 v6, v[14:17]
	v_add_nc_u32_e32 v10, s3, v9
	s_movk_i32 s3, 0x400
	s_wait_dscnt 0x0
	s_barrier_signal -1
	s_barrier_wait -1
.LBB0_1:                                ; =>This Inner Loop Header: Depth=1
	ds_load_b128 v[12:15], v1
	ds_load_b128 v[16:19], v3
	s_sub_co_i32 s3, s3, 32
	s_wait_dscnt 0x1
	ds_store_b128 v3, v[12:15]
	s_wait_dscnt 0x1
	ds_store_b128 v1, v[16:19]
	ds_load_b128 v[12:15], v7
	ds_load_b128 v[16:19], v8
	s_cmp_eq_u32 s3, 0
	s_wait_dscnt 0x1
	ds_store_b128 v8, v[12:15]
	s_wait_dscnt 0x1
	ds_store_b128 v7, v[16:19]
	ds_load_b128 v[12:15], v9
	ds_load_b128 v[16:19], v10
	s_wait_dscnt 0x1
	ds_store_b128 v10, v[12:15]
	s_wait_dscnt 0x1
	ds_store_b128 v9, v[16:19]
	s_wait_dscnt 0x0
	s_barrier_signal -1
	s_barrier_wait -1
	ds_load_b128 v[12:15], v3
	ds_load_b128 v[16:19], v7
	s_wait_dscnt 0x1
	ds_store_b128 v7, v[12:15]
	s_wait_dscnt 0x1
	ds_store_b128 v3, v[16:19]
	ds_load_b128 v[12:15], v8
	ds_load_b128 v[16:19], v9
	s_wait_dscnt 0x1
	ds_store_b128 v9, v[12:15]
	s_wait_dscnt 0x1
	ds_store_b128 v8, v[16:19]
	s_wait_dscnt 0x0
	s_barrier_signal -1
	s_barrier_wait -1
	ds_load_b128 v[12:15], v1
	ds_load_b128 v[16:19], v3
	s_wait_dscnt 0x1
	ds_store_b128 v3, v[12:15]
	s_wait_dscnt 0x1
	ds_store_b128 v1, v[16:19]
	ds_load_b128 v[12:15], v7
	ds_load_b128 v[16:19], v8
	s_wait_dscnt 0x1
	ds_store_b128 v8, v[12:15]
	s_wait_dscnt 0x1
	ds_store_b128 v7, v[16:19]
	ds_load_b128 v[12:15], v9
	ds_load_b128 v[16:19], v10
	s_wait_dscnt 0x1
	ds_store_b128 v10, v[12:15]
	s_wait_dscnt 0x1
	ds_store_b128 v9, v[16:19]
	s_wait_dscnt 0x0
	s_barrier_signal -1
	s_barrier_wait -1
	ds_load_b128 v[12:15], v3
	ds_load_b128 v[16:19], v7
	s_wait_dscnt 0x1
	ds_store_b128 v7, v[12:15]
	s_wait_dscnt 0x1
	ds_store_b128 v3, v[16:19]
	ds_load_b128 v[12:15], v8
	ds_load_b128 v[16:19], v9
	s_wait_dscnt 0x1
	ds_store_b128 v9, v[12:15]
	s_wait_dscnt 0x1
	ds_store_b128 v8, v[16:19]
	s_wait_dscnt 0x0
	s_barrier_signal -1
	s_barrier_wait -1
	ds_load_b128 v[12:15], v1
	ds_load_b128 v[16:19], v3
	s_wait_dscnt 0x1
	ds_store_b128 v3, v[12:15]
	s_wait_dscnt 0x1
	ds_store_b128 v1, v[16:19]
	ds_load_b128 v[12:15], v7
	ds_load_b128 v[16:19], v8
	;; [unrolled: 36-line block ×31, first 2 shown]
	s_wait_dscnt 0x1
	ds_store_b128 v8, v[12:15]
	s_wait_dscnt 0x1
	ds_store_b128 v7, v[16:19]
	ds_load_b128 v[12:15], v9
	ds_load_b128 v[16:19], v10
	s_wait_dscnt 0x1
	ds_store_b128 v10, v[12:15]
	s_wait_dscnt 0x1
	ds_store_b128 v9, v[16:19]
	s_wait_dscnt 0x0
	s_barrier_signal -1
	s_barrier_wait -1
	ds_load_b128 v[12:15], v3
	ds_load_b128 v[16:19], v7
	s_wait_dscnt 0x1
	ds_store_b128 v7, v[12:15]
	s_wait_dscnt 0x1
	ds_store_b128 v3, v[16:19]
	ds_load_b128 v[12:15], v8
	ds_load_b128 v[16:19], v9
	s_wait_dscnt 0x1
	ds_store_b128 v9, v[12:15]
	s_wait_dscnt 0x1
	ds_store_b128 v8, v[16:19]
	s_wait_dscnt 0x0
	s_barrier_signal -1
	s_barrier_wait -1
	s_cbranch_scc0 .LBB0_1
; %bb.2:
	ds_load_b128 v[8:11], v1
	ds_load_b128 v[12:15], v3
	;; [unrolled: 1-line block ×6, first 2 shown]
	s_bfe_u32 s3, ttmp6, 0x4000c
	s_load_b64 s[0:1], s[0:1], 0x0
	s_add_co_i32 s3, s3, 1
	s_and_b32 s4, ttmp6, 15
	s_mul_i32 s3, ttmp9, s3
	s_getreg_b32 s5, hwreg(HW_REG_IB_STS2, 6, 4)
	s_add_co_i32 s4, s4, s3
	s_cmp_eq_u32 s5, 0
	s_cselect_b32 s3, ttmp9, s4
	s_wait_dscnt 0x4
	v_pk_add_f32 v[6:7], v[8:9], v[12:13]
	v_pk_add_f32 v[8:9], v[10:11], v[14:15]
	v_mad_u32 v10, s3, s2, v0
	s_wait_dscnt 0x3
	s_delay_alu instid0(VALU_DEP_3) | instskip(NEXT) | instid1(VALU_DEP_3)
	v_pk_add_f32 v[6:7], v[6:7], v[16:17]
	v_pk_add_f32 v[8:9], v[8:9], v[18:19]
	s_wait_dscnt 0x2
	s_delay_alu instid0(VALU_DEP_2) | instskip(NEXT) | instid1(VALU_DEP_2)
	v_pk_add_f32 v[6:7], v[6:7], v[20:21]
	v_pk_add_f32 v[8:9], v[8:9], v[22:23]
	s_wait_dscnt 0x1
	s_delay_alu instid0(VALU_DEP_2) | instskip(NEXT) | instid1(VALU_DEP_2)
	;; [unrolled: 4-line block ×3, first 2 shown]
	v_pk_add_f32 v[0:1], v[0:1], v[24:25]
	v_pk_add_f32 v[2:3], v[2:3], v[26:27]
	s_wait_kmcnt 0x0
	global_store_b128 v10, v[0:3], s[0:1] scale_offset
	s_endpgm
	.section	.rodata,"a",@progbits
	.p2align	6, 0x0
	.amdhsa_kernel _Z15benchmark_shmemP15HIP_vector_typeIfLj4EE
		.amdhsa_group_segment_fixed_size 24576
		.amdhsa_private_segment_fixed_size 0
		.amdhsa_kernarg_size 264
		.amdhsa_user_sgpr_count 2
		.amdhsa_user_sgpr_dispatch_ptr 0
		.amdhsa_user_sgpr_queue_ptr 0
		.amdhsa_user_sgpr_kernarg_segment_ptr 1
		.amdhsa_user_sgpr_dispatch_id 0
		.amdhsa_user_sgpr_kernarg_preload_length 0
		.amdhsa_user_sgpr_kernarg_preload_offset 0
		.amdhsa_user_sgpr_private_segment_size 0
		.amdhsa_wavefront_size32 1
		.amdhsa_uses_dynamic_stack 0
		.amdhsa_enable_private_segment 0
		.amdhsa_system_sgpr_workgroup_id_x 1
		.amdhsa_system_sgpr_workgroup_id_y 0
		.amdhsa_system_sgpr_workgroup_id_z 0
		.amdhsa_system_sgpr_workgroup_info 0
		.amdhsa_system_vgpr_workitem_id 0
		.amdhsa_next_free_vgpr 28
		.amdhsa_next_free_sgpr 6
		.amdhsa_named_barrier_count 0
		.amdhsa_reserve_vcc 0
		.amdhsa_float_round_mode_32 0
		.amdhsa_float_round_mode_16_64 0
		.amdhsa_float_denorm_mode_32 3
		.amdhsa_float_denorm_mode_16_64 3
		.amdhsa_fp16_overflow 0
		.amdhsa_memory_ordered 1
		.amdhsa_forward_progress 1
		.amdhsa_inst_pref_size 61
		.amdhsa_round_robin_scheduling 0
		.amdhsa_exception_fp_ieee_invalid_op 0
		.amdhsa_exception_fp_denorm_src 0
		.amdhsa_exception_fp_ieee_div_zero 0
		.amdhsa_exception_fp_ieee_overflow 0
		.amdhsa_exception_fp_ieee_underflow 0
		.amdhsa_exception_fp_ieee_inexact 0
		.amdhsa_exception_int_div_zero 0
	.end_amdhsa_kernel
	.text
.Lfunc_end0:
	.size	_Z15benchmark_shmemP15HIP_vector_typeIfLj4EE, .Lfunc_end0-_Z15benchmark_shmemP15HIP_vector_typeIfLj4EE
                                        ; -- End function
	.set _Z15benchmark_shmemP15HIP_vector_typeIfLj4EE.num_vgpr, 28
	.set _Z15benchmark_shmemP15HIP_vector_typeIfLj4EE.num_agpr, 0
	.set _Z15benchmark_shmemP15HIP_vector_typeIfLj4EE.numbered_sgpr, 6
	.set _Z15benchmark_shmemP15HIP_vector_typeIfLj4EE.num_named_barrier, 0
	.set _Z15benchmark_shmemP15HIP_vector_typeIfLj4EE.private_seg_size, 0
	.set _Z15benchmark_shmemP15HIP_vector_typeIfLj4EE.uses_vcc, 0
	.set _Z15benchmark_shmemP15HIP_vector_typeIfLj4EE.uses_flat_scratch, 0
	.set _Z15benchmark_shmemP15HIP_vector_typeIfLj4EE.has_dyn_sized_stack, 0
	.set _Z15benchmark_shmemP15HIP_vector_typeIfLj4EE.has_recursion, 0
	.set _Z15benchmark_shmemP15HIP_vector_typeIfLj4EE.has_indirect_call, 0
	.section	.AMDGPU.csdata,"",@progbits
; Kernel info:
; codeLenInByte = 7796
; TotalNumSgprs: 6
; NumVgprs: 28
; ScratchSize: 0
; MemoryBound: 1
; FloatMode: 240
; IeeeMode: 1
; LDSByteSize: 24576 bytes/workgroup (compile time only)
; SGPRBlocks: 0
; VGPRBlocks: 1
; NumSGPRsForWavesPerEU: 6
; NumVGPRsForWavesPerEU: 28
; NamedBarCnt: 0
; Occupancy: 16
; WaveLimiterHint : 1
; COMPUTE_PGM_RSRC2:SCRATCH_EN: 0
; COMPUTE_PGM_RSRC2:USER_SGPR: 2
; COMPUTE_PGM_RSRC2:TRAP_HANDLER: 0
; COMPUTE_PGM_RSRC2:TGID_X_EN: 1
; COMPUTE_PGM_RSRC2:TGID_Y_EN: 0
; COMPUTE_PGM_RSRC2:TGID_Z_EN: 0
; COMPUTE_PGM_RSRC2:TIDIG_COMP_CNT: 0
	.text
	.p2alignl 7, 3214868480
	.fill 96, 4, 3214868480
	.section	.AMDGPU.gpr_maximums,"",@progbits
	.set amdgpu.max_num_vgpr, 0
	.set amdgpu.max_num_agpr, 0
	.set amdgpu.max_num_sgpr, 0
	.text
	.type	__hip_cuid_38962c00bf2b731b,@object ; @__hip_cuid_38962c00bf2b731b
	.section	.bss,"aw",@nobits
	.globl	__hip_cuid_38962c00bf2b731b
__hip_cuid_38962c00bf2b731b:
	.byte	0                               ; 0x0
	.size	__hip_cuid_38962c00bf2b731b, 1

	.ident	"AMD clang version 22.0.0git (https://github.com/RadeonOpenCompute/llvm-project roc-7.2.4 26084 f58b06dce1f9c15707c5f808fd002e18c2accf7e)"
	.section	".note.GNU-stack","",@progbits
	.addrsig
	.addrsig_sym __hip_cuid_38962c00bf2b731b
	.amdgpu_metadata
---
amdhsa.kernels:
  - .args:
      - .address_space:  global
        .offset:         0
        .size:           8
        .value_kind:     global_buffer
      - .offset:         8
        .size:           4
        .value_kind:     hidden_block_count_x
      - .offset:         12
        .size:           4
        .value_kind:     hidden_block_count_y
      - .offset:         16
        .size:           4
        .value_kind:     hidden_block_count_z
      - .offset:         20
        .size:           2
        .value_kind:     hidden_group_size_x
      - .offset:         22
        .size:           2
        .value_kind:     hidden_group_size_y
      - .offset:         24
        .size:           2
        .value_kind:     hidden_group_size_z
      - .offset:         26
        .size:           2
        .value_kind:     hidden_remainder_x
      - .offset:         28
        .size:           2
        .value_kind:     hidden_remainder_y
      - .offset:         30
        .size:           2
        .value_kind:     hidden_remainder_z
      - .offset:         48
        .size:           8
        .value_kind:     hidden_global_offset_x
      - .offset:         56
        .size:           8
        .value_kind:     hidden_global_offset_y
      - .offset:         64
        .size:           8
        .value_kind:     hidden_global_offset_z
      - .offset:         72
        .size:           2
        .value_kind:     hidden_grid_dims
    .group_segment_fixed_size: 24576
    .kernarg_segment_align: 8
    .kernarg_segment_size: 264
    .language:       OpenCL C
    .language_version:
      - 2
      - 0
    .max_flat_workgroup_size: 1024
    .name:           _Z15benchmark_shmemP15HIP_vector_typeIfLj4EE
    .private_segment_fixed_size: 0
    .sgpr_count:     6
    .sgpr_spill_count: 0
    .symbol:         _Z15benchmark_shmemP15HIP_vector_typeIfLj4EE.kd
    .uniform_work_group_size: 1
    .uses_dynamic_stack: false
    .vgpr_count:     28
    .vgpr_spill_count: 0
    .wavefront_size: 32
amdhsa.target:   amdgcn-amd-amdhsa--gfx1250
amdhsa.version:
  - 1
  - 2
...

	.end_amdgpu_metadata
